;; amdgpu-corpus repo=ROCm/rocFFT kind=compiled arch=gfx906 opt=O3
	.text
	.amdgcn_target "amdgcn-amd-amdhsa--gfx906"
	.amdhsa_code_object_version 6
	.protected	fft_rtc_back_len2002_factors_2_13_7_11_wgs_182_tpt_182_halfLds_sp_op_CI_CI_unitstride_sbrr_R2C_dirReg ; -- Begin function fft_rtc_back_len2002_factors_2_13_7_11_wgs_182_tpt_182_halfLds_sp_op_CI_CI_unitstride_sbrr_R2C_dirReg
	.globl	fft_rtc_back_len2002_factors_2_13_7_11_wgs_182_tpt_182_halfLds_sp_op_CI_CI_unitstride_sbrr_R2C_dirReg
	.p2align	8
	.type	fft_rtc_back_len2002_factors_2_13_7_11_wgs_182_tpt_182_halfLds_sp_op_CI_CI_unitstride_sbrr_R2C_dirReg,@function
fft_rtc_back_len2002_factors_2_13_7_11_wgs_182_tpt_182_halfLds_sp_op_CI_CI_unitstride_sbrr_R2C_dirReg: ; @fft_rtc_back_len2002_factors_2_13_7_11_wgs_182_tpt_182_halfLds_sp_op_CI_CI_unitstride_sbrr_R2C_dirReg
; %bb.0:
	s_load_dwordx4 s[8:11], s[4:5], 0x58
	s_load_dwordx4 s[12:15], s[4:5], 0x0
	;; [unrolled: 1-line block ×3, first 2 shown]
	v_mul_u32_u24_e32 v1, 0x169, v0
	v_add_u32_sdwa v5, s6, v1 dst_sel:DWORD dst_unused:UNUSED_PAD src0_sel:DWORD src1_sel:WORD_1
	v_mov_b32_e32 v3, 0
	s_waitcnt lgkmcnt(0)
	v_cmp_lt_u64_e64 s[0:1], s[14:15], 2
	v_mov_b32_e32 v1, 0
	v_mov_b32_e32 v6, v3
	s_and_b64 vcc, exec, s[0:1]
	v_mov_b32_e32 v2, 0
	s_cbranch_vccnz .LBB0_8
; %bb.1:
	s_load_dwordx2 s[0:1], s[4:5], 0x10
	s_add_u32 s2, s18, 8
	s_addc_u32 s3, s19, 0
	s_add_u32 s6, s16, 8
	v_mov_b32_e32 v1, 0
	s_addc_u32 s7, s17, 0
	v_mov_b32_e32 v2, 0
	s_waitcnt lgkmcnt(0)
	s_add_u32 s20, s0, 8
	v_mov_b32_e32 v25, v2
	s_addc_u32 s21, s1, 0
	s_mov_b64 s[22:23], 1
	v_mov_b32_e32 v24, v1
.LBB0_2:                                ; =>This Inner Loop Header: Depth=1
	s_load_dwordx2 s[24:25], s[20:21], 0x0
                                        ; implicit-def: $vgpr26_vgpr27
	s_waitcnt lgkmcnt(0)
	v_or_b32_e32 v4, s25, v6
	v_cmp_ne_u64_e32 vcc, 0, v[3:4]
	s_and_saveexec_b64 s[0:1], vcc
	s_xor_b64 s[26:27], exec, s[0:1]
	s_cbranch_execz .LBB0_4
; %bb.3:                                ;   in Loop: Header=BB0_2 Depth=1
	v_cvt_f32_u32_e32 v4, s24
	v_cvt_f32_u32_e32 v7, s25
	s_sub_u32 s0, 0, s24
	s_subb_u32 s1, 0, s25
	v_mac_f32_e32 v4, 0x4f800000, v7
	v_rcp_f32_e32 v4, v4
	v_mul_f32_e32 v4, 0x5f7ffffc, v4
	v_mul_f32_e32 v7, 0x2f800000, v4
	v_trunc_f32_e32 v7, v7
	v_mac_f32_e32 v4, 0xcf800000, v7
	v_cvt_u32_f32_e32 v7, v7
	v_cvt_u32_f32_e32 v4, v4
	v_mul_lo_u32 v8, s0, v7
	v_mul_hi_u32 v9, s0, v4
	v_mul_lo_u32 v11, s1, v4
	v_mul_lo_u32 v10, s0, v4
	v_add_u32_e32 v8, v9, v8
	v_add_u32_e32 v8, v8, v11
	v_mul_hi_u32 v9, v4, v10
	v_mul_lo_u32 v11, v4, v8
	v_mul_hi_u32 v13, v4, v8
	v_mul_hi_u32 v12, v7, v10
	v_mul_lo_u32 v10, v7, v10
	v_mul_hi_u32 v14, v7, v8
	v_add_co_u32_e32 v9, vcc, v9, v11
	v_addc_co_u32_e32 v11, vcc, 0, v13, vcc
	v_mul_lo_u32 v8, v7, v8
	v_add_co_u32_e32 v9, vcc, v9, v10
	v_addc_co_u32_e32 v9, vcc, v11, v12, vcc
	v_addc_co_u32_e32 v10, vcc, 0, v14, vcc
	v_add_co_u32_e32 v8, vcc, v9, v8
	v_addc_co_u32_e32 v9, vcc, 0, v10, vcc
	v_add_co_u32_e32 v4, vcc, v4, v8
	v_addc_co_u32_e32 v7, vcc, v7, v9, vcc
	v_mul_lo_u32 v8, s0, v7
	v_mul_hi_u32 v9, s0, v4
	v_mul_lo_u32 v10, s1, v4
	v_mul_lo_u32 v11, s0, v4
	v_add_u32_e32 v8, v9, v8
	v_add_u32_e32 v8, v8, v10
	v_mul_lo_u32 v12, v4, v8
	v_mul_hi_u32 v13, v4, v11
	v_mul_hi_u32 v14, v4, v8
	v_mul_hi_u32 v10, v7, v11
	v_mul_lo_u32 v11, v7, v11
	v_mul_hi_u32 v9, v7, v8
	v_add_co_u32_e32 v12, vcc, v13, v12
	v_addc_co_u32_e32 v13, vcc, 0, v14, vcc
	v_mul_lo_u32 v8, v7, v8
	v_add_co_u32_e32 v11, vcc, v12, v11
	v_addc_co_u32_e32 v10, vcc, v13, v10, vcc
	v_addc_co_u32_e32 v9, vcc, 0, v9, vcc
	v_add_co_u32_e32 v8, vcc, v10, v8
	v_addc_co_u32_e32 v9, vcc, 0, v9, vcc
	v_add_co_u32_e32 v4, vcc, v4, v8
	v_addc_co_u32_e32 v9, vcc, v7, v9, vcc
	v_mad_u64_u32 v[7:8], s[0:1], v5, v9, 0
	v_mul_hi_u32 v10, v5, v4
	v_add_co_u32_e32 v11, vcc, v10, v7
	v_addc_co_u32_e32 v12, vcc, 0, v8, vcc
	v_mad_u64_u32 v[7:8], s[0:1], v6, v4, 0
	v_mad_u64_u32 v[9:10], s[0:1], v6, v9, 0
	v_add_co_u32_e32 v4, vcc, v11, v7
	v_addc_co_u32_e32 v4, vcc, v12, v8, vcc
	v_addc_co_u32_e32 v7, vcc, 0, v10, vcc
	v_add_co_u32_e32 v4, vcc, v4, v9
	v_addc_co_u32_e32 v9, vcc, 0, v7, vcc
	v_mul_lo_u32 v10, s25, v4
	v_mul_lo_u32 v11, s24, v9
	v_mad_u64_u32 v[7:8], s[0:1], s24, v4, 0
	v_add3_u32 v8, v8, v11, v10
	v_sub_u32_e32 v10, v6, v8
	v_mov_b32_e32 v11, s25
	v_sub_co_u32_e32 v7, vcc, v5, v7
	v_subb_co_u32_e64 v10, s[0:1], v10, v11, vcc
	v_subrev_co_u32_e64 v11, s[0:1], s24, v7
	v_subbrev_co_u32_e64 v10, s[0:1], 0, v10, s[0:1]
	v_cmp_le_u32_e64 s[0:1], s25, v10
	v_cndmask_b32_e64 v12, 0, -1, s[0:1]
	v_cmp_le_u32_e64 s[0:1], s24, v11
	v_cndmask_b32_e64 v11, 0, -1, s[0:1]
	v_cmp_eq_u32_e64 s[0:1], s25, v10
	v_cndmask_b32_e64 v10, v12, v11, s[0:1]
	v_add_co_u32_e64 v11, s[0:1], 2, v4
	v_addc_co_u32_e64 v12, s[0:1], 0, v9, s[0:1]
	v_add_co_u32_e64 v13, s[0:1], 1, v4
	v_addc_co_u32_e64 v14, s[0:1], 0, v9, s[0:1]
	v_subb_co_u32_e32 v8, vcc, v6, v8, vcc
	v_cmp_ne_u32_e64 s[0:1], 0, v10
	v_cmp_le_u32_e32 vcc, s25, v8
	v_cndmask_b32_e64 v10, v14, v12, s[0:1]
	v_cndmask_b32_e64 v12, 0, -1, vcc
	v_cmp_le_u32_e32 vcc, s24, v7
	v_cndmask_b32_e64 v7, 0, -1, vcc
	v_cmp_eq_u32_e32 vcc, s25, v8
	v_cndmask_b32_e32 v7, v12, v7, vcc
	v_cmp_ne_u32_e32 vcc, 0, v7
	v_cndmask_b32_e64 v7, v13, v11, s[0:1]
	v_cndmask_b32_e32 v27, v9, v10, vcc
	v_cndmask_b32_e32 v26, v4, v7, vcc
.LBB0_4:                                ;   in Loop: Header=BB0_2 Depth=1
	s_andn2_saveexec_b64 s[0:1], s[26:27]
	s_cbranch_execz .LBB0_6
; %bb.5:                                ;   in Loop: Header=BB0_2 Depth=1
	v_cvt_f32_u32_e32 v4, s24
	s_sub_i32 s26, 0, s24
	v_mov_b32_e32 v27, v3
	v_rcp_iflag_f32_e32 v4, v4
	v_mul_f32_e32 v4, 0x4f7ffffe, v4
	v_cvt_u32_f32_e32 v4, v4
	v_mul_lo_u32 v7, s26, v4
	v_mul_hi_u32 v7, v4, v7
	v_add_u32_e32 v4, v4, v7
	v_mul_hi_u32 v4, v5, v4
	v_mul_lo_u32 v7, v4, s24
	v_add_u32_e32 v8, 1, v4
	v_sub_u32_e32 v7, v5, v7
	v_subrev_u32_e32 v9, s24, v7
	v_cmp_le_u32_e32 vcc, s24, v7
	v_cndmask_b32_e32 v7, v7, v9, vcc
	v_cndmask_b32_e32 v4, v4, v8, vcc
	v_add_u32_e32 v8, 1, v4
	v_cmp_le_u32_e32 vcc, s24, v7
	v_cndmask_b32_e32 v26, v4, v8, vcc
.LBB0_6:                                ;   in Loop: Header=BB0_2 Depth=1
	s_or_b64 exec, exec, s[0:1]
	v_mul_lo_u32 v4, v27, s24
	v_mul_lo_u32 v9, v26, s25
	v_mad_u64_u32 v[7:8], s[0:1], v26, s24, 0
	s_load_dwordx2 s[0:1], s[6:7], 0x0
	s_load_dwordx2 s[24:25], s[2:3], 0x0
	v_add3_u32 v4, v8, v9, v4
	v_sub_co_u32_e32 v5, vcc, v5, v7
	v_subb_co_u32_e32 v4, vcc, v6, v4, vcc
	s_waitcnt lgkmcnt(0)
	v_mul_lo_u32 v6, s0, v4
	v_mul_lo_u32 v7, s1, v5
	v_mad_u64_u32 v[1:2], s[0:1], s0, v5, v[1:2]
	v_mul_lo_u32 v4, s24, v4
	v_mul_lo_u32 v8, s25, v5
	v_mad_u64_u32 v[24:25], s[0:1], s24, v5, v[24:25]
	s_add_u32 s22, s22, 1
	s_addc_u32 s23, s23, 0
	s_add_u32 s2, s2, 8
	v_add3_u32 v25, v8, v25, v4
	s_addc_u32 s3, s3, 0
	v_mov_b32_e32 v4, s14
	s_add_u32 s6, s6, 8
	v_mov_b32_e32 v5, s15
	s_addc_u32 s7, s7, 0
	v_cmp_ge_u64_e32 vcc, s[22:23], v[4:5]
	s_add_u32 s20, s20, 8
	v_add3_u32 v2, v7, v2, v6
	s_addc_u32 s21, s21, 0
	s_cbranch_vccnz .LBB0_9
; %bb.7:                                ;   in Loop: Header=BB0_2 Depth=1
	v_mov_b32_e32 v5, v26
	v_mov_b32_e32 v6, v27
	s_branch .LBB0_2
.LBB0_8:
	v_mov_b32_e32 v25, v2
	v_mov_b32_e32 v27, v6
	;; [unrolled: 1-line block ×4, first 2 shown]
.LBB0_9:
	s_load_dwordx2 s[4:5], s[4:5], 0x28
	s_lshl_b64 s[6:7], s[14:15], 3
	s_add_u32 s2, s18, s6
	s_addc_u32 s3, s19, s7
                                        ; implicit-def: $vgpr28
                                        ; implicit-def: $vgpr30
                                        ; implicit-def: $vgpr35
                                        ; implicit-def: $vgpr34
                                        ; implicit-def: $vgpr33
                                        ; implicit-def: $vgpr32
	s_waitcnt lgkmcnt(0)
	v_cmp_gt_u64_e64 s[0:1], s[4:5], v[26:27]
	v_cmp_le_u64_e32 vcc, s[4:5], v[26:27]
	s_and_saveexec_b64 s[4:5], vcc
	s_xor_b64 s[4:5], exec, s[4:5]
; %bb.10:
	s_mov_b32 s14, 0x1681682
	v_mul_hi_u32 v1, v0, s14
	v_mul_u32_u24_e32 v1, 0xb6, v1
	v_sub_u32_e32 v28, v0, v1
	v_add_u32_e32 v30, 0xb6, v28
	v_add_u32_e32 v35, 0x16c, v28
	;; [unrolled: 1-line block ×5, first 2 shown]
                                        ; implicit-def: $vgpr0
                                        ; implicit-def: $vgpr1_vgpr2
; %bb.11:
	s_andn2_saveexec_b64 s[4:5], s[4:5]
	s_cbranch_execz .LBB0_13
; %bb.12:
	s_add_u32 s6, s16, s6
	s_addc_u32 s7, s17, s7
	s_load_dwordx2 s[6:7], s[6:7], 0x0
	s_mov_b32 s14, 0x1681682
	v_mul_hi_u32 v5, v0, s14
	s_waitcnt lgkmcnt(0)
	v_mul_lo_u32 v6, s7, v26
	v_mul_lo_u32 v7, s6, v27
	v_mad_u64_u32 v[3:4], s[6:7], s6, v26, 0
	v_mul_u32_u24_e32 v5, 0xb6, v5
	v_sub_u32_e32 v28, v0, v5
	v_add3_u32 v4, v4, v7, v6
	v_lshlrev_b64 v[3:4], 3, v[3:4]
	v_mov_b32_e32 v0, s9
	v_add_co_u32_e32 v3, vcc, s8, v3
	v_addc_co_u32_e32 v4, vcc, v0, v4, vcc
	v_lshlrev_b64 v[0:1], 3, v[1:2]
	v_lshlrev_b32_e32 v29, 3, v28
	v_add_co_u32_e32 v0, vcc, v3, v0
	v_addc_co_u32_e32 v1, vcc, v4, v1, vcc
	v_add_co_u32_e32 v0, vcc, v0, v29
	v_addc_co_u32_e32 v1, vcc, 0, v1, vcc
	s_movk_i32 s6, 0x1000
	v_add_co_u32_e32 v2, vcc, s6, v0
	v_addc_co_u32_e32 v3, vcc, 0, v1, vcc
	s_movk_i32 s6, 0x2000
	v_add_co_u32_e32 v12, vcc, s6, v0
	v_addc_co_u32_e32 v13, vcc, 0, v1, vcc
	global_load_dwordx2 v[4:5], v[0:1], off
	global_load_dwordx2 v[6:7], v[0:1], off offset:1456
	global_load_dwordx2 v[8:9], v[0:1], off offset:2912
	;; [unrolled: 1-line block ×3, first 2 shown]
	v_add_co_u32_e32 v0, vcc, 0x3000, v0
	global_load_dwordx2 v[14:15], v[2:3], off offset:1728
	global_load_dwordx2 v[16:17], v[2:3], off offset:3184
	;; [unrolled: 1-line block ×4, first 2 shown]
	v_addc_co_u32_e32 v1, vcc, 0, v1, vcc
	global_load_dwordx2 v[2:3], v[12:13], off offset:3456
	global_load_dwordx2 v[22:23], v[0:1], off offset:816
	global_load_dwordx2 v[36:37], v[0:1], off offset:2272
	v_add_u32_e32 v30, 0xb6, v28
	v_add_u32_e32 v35, 0x16c, v28
	v_add_u32_e32 v34, 0x222, v28
	v_add_u32_e32 v33, 0x2d8, v28
	v_add_u32_e32 v32, 0x38e, v28
	v_add_u32_e32 v0, 0, v29
	v_add_u32_e32 v1, 0xa00, v0
	v_add_u32_e32 v12, 0x1600, v0
	v_add_u32_e32 v13, 0x2000, v0
	v_add_u32_e32 v29, 0x2c00, v0
	s_waitcnt vmcnt(9)
	ds_write2_b64 v0, v[4:5], v[6:7] offset1:182
	s_waitcnt vmcnt(7)
	ds_write2_b64 v1, v[8:9], v[10:11] offset0:44 offset1:226
	s_waitcnt vmcnt(5)
	ds_write2_b64 v12, v[14:15], v[16:17] offset0:24 offset1:206
	;; [unrolled: 2-line block ×4, first 2 shown]
	s_waitcnt vmcnt(0)
	ds_write_b64 v0, v[36:37] offset:14560
.LBB0_13:
	s_or_b64 exec, exec, s[4:5]
	v_lshlrev_b32_e32 v29, 3, v28
	v_add_u32_e32 v40, 0, v29
	v_add_u32_e32 v0, 0x1e00, v40
	s_load_dwordx2 s[4:5], s[2:3], 0x0
	s_waitcnt lgkmcnt(0)
	s_barrier
	ds_read2_b64 v[8:11], v40 offset1:182
	ds_read2_b64 v[2:5], v0 offset0:41 offset1:223
	v_add_u32_e32 v0, 0xa00, v40
	v_add_u32_e32 v1, 0x2a00, v40
	ds_read2_b64 v[16:19], v0 offset0:44 offset1:226
	ds_read2_b64 v[12:15], v1 offset0:21 offset1:203
	v_add_u32_e32 v31, v40, v29
	s_waitcnt lgkmcnt(2)
	v_sub_f32_e32 v2, v8, v2
	v_sub_f32_e32 v3, v9, v3
	v_fma_f32 v0, v8, 2.0, -v2
	v_add_u32_e32 v8, 0x1600, v40
	v_fma_f32 v1, v9, 2.0, -v3
	v_add_u32_e32 v9, 0x3400, v40
	ds_read2_b64 v[36:39], v8 offset0:24 offset1:206
	ds_read2_b64 v[20:23], v9 offset0:65 offset1:247
	v_sub_f32_e32 v6, v10, v4
	v_sub_f32_e32 v7, v11, v5
	v_fma_f32 v4, v10, 2.0, -v6
	v_fma_f32 v5, v11, 2.0, -v7
	s_waitcnt lgkmcnt(2)
	v_sub_f32_e32 v10, v16, v12
	v_sub_f32_e32 v11, v17, v13
	s_waitcnt lgkmcnt(0)
	s_barrier
	ds_write2_b64 v31, v[0:1], v[2:3] offset1:1
	v_lshl_add_u32 v31, v30, 4, 0
	v_sub_f32_e32 v14, v18, v14
	v_sub_f32_e32 v15, v19, v15
	v_fma_f32 v8, v16, 2.0, -v10
	v_fma_f32 v9, v17, 2.0, -v11
	ds_write2_b64 v31, v[4:5], v[6:7] offset1:1
	v_lshl_add_u32 v31, v35, 4, 0
	v_fma_f32 v12, v18, 2.0, -v14
	v_fma_f32 v13, v19, 2.0, -v15
	v_sub_f32_e32 v18, v36, v20
	v_sub_f32_e32 v19, v37, v21
	;; [unrolled: 1-line block ×4, first 2 shown]
	ds_write2_b64 v31, v[8:9], v[10:11] offset1:1
	v_lshl_add_u32 v31, v34, 4, 0
	s_movk_i32 s2, 0x5b
	v_fma_f32 v16, v36, 2.0, -v18
	v_fma_f32 v17, v37, 2.0, -v19
	;; [unrolled: 1-line block ×4, first 2 shown]
	ds_write2_b64 v31, v[12:13], v[14:15] offset1:1
	v_lshl_add_u32 v31, v33, 4, 0
	v_cmp_gt_u32_e32 vcc, s2, v28
	ds_write2_b64 v31, v[16:17], v[18:19] offset1:1
	s_and_saveexec_b64 s[2:3], vcc
	s_cbranch_execz .LBB0_15
; %bb.14:
	v_lshl_add_u32 v31, v32, 4, 0
	ds_write2_b64 v31, v[20:21], v[22:23] offset1:1
.LBB0_15:
	s_or_b64 exec, exec, s[2:3]
	s_movk_i32 s2, 0x9a
	v_cmp_gt_u32_e64 s[2:3], s2, v28
	s_waitcnt lgkmcnt(0)
	s_barrier
	s_waitcnt lgkmcnt(0)
                                        ; implicit-def: $vgpr37
	s_and_saveexec_b64 s[6:7], s[2:3]
	s_cbranch_execz .LBB0_17
; %bb.16:
	v_add_u32_e32 v4, 0x800, v40
	v_add_u32_e32 v8, 0x1200, v40
	;; [unrolled: 1-line block ×5, first 2 shown]
	ds_read2_b64 v[0:3], v40 offset1:154
	ds_read2_b64 v[4:7], v4 offset0:52 offset1:206
	ds_read2_b64 v[8:11], v8 offset0:40 offset1:194
	;; [unrolled: 1-line block ×5, first 2 shown]
	ds_read_b64 v[36:37], v40 offset:14784
.LBB0_17:
	s_or_b64 exec, exec, s[6:7]
	v_and_b32_e32 v31, 1, v28
	v_mul_u32_u24_e32 v38, 12, v31
	v_lshlrev_b32_e32 v38, 3, v38
	global_load_dwordx4 v[51:54], v38, s[12:13] offset:80
	global_load_dwordx4 v[55:58], v38, s[12:13] offset:64
	;; [unrolled: 1-line block ×5, first 2 shown]
	global_load_dwordx4 v[71:74], v38, s[12:13]
	s_mov_b32 s7, 0x3f62ad3f
	s_mov_b32 s6, 0x3f116cb1
	;; [unrolled: 1-line block ×6, first 2 shown]
	s_waitcnt vmcnt(0) lgkmcnt(0)
	s_barrier
	v_mul_f32_e32 v38, v37, v54
	v_mul_f32_e32 v54, v36, v54
	;; [unrolled: 1-line block ×9, first 2 shown]
	v_fmac_f32_e32 v38, v36, v53
	v_fma_f32 v36, v37, v53, -v54
	v_fma_f32 v37, v3, v71, -v72
	v_mul_f32_e32 v41, v21, v58
	v_mul_f32_e32 v58, v20, v58
	;; [unrolled: 1-line block ×11, first 2 shown]
	v_fmac_f32_e32 v39, v22, v51
	v_fma_f32 v22, v23, v51, -v52
	v_fmac_f32_e32 v47, v8, v69
	v_fma_f32 v23, v5, v73, -v74
	v_fmac_f32_e32 v50, v2, v71
	v_sub_f32_e32 v8, v37, v36
	v_fmac_f32_e32 v41, v20, v57
	v_fma_f32 v20, v21, v57, -v58
	v_fmac_f32_e32 v42, v18, v55
	v_fma_f32 v18, v19, v55, -v56
	;; [unrolled: 2-line block ×4, first 2 shown]
	v_fma_f32 v19, v9, v69, -v70
	v_fma_f32 v21, v7, v67, -v68
	v_fmac_f32_e32 v49, v4, v73
	v_add_f32_e32 v63, v50, v38
	v_sub_f32_e32 v9, v23, v22
	v_add_f32_e32 v125, v37, v36
	v_mul_f32_e32 v52, 0xbeedf032, v8
	v_mul_f32_e32 v44, v15, v60
	v_mul_f32_e32 v60, v14, v60
	v_mul_f32_e32 v45, v13, v66
	v_mul_f32_e32 v66, v12, v66
	v_fmac_f32_e32 v48, v6, v67
	v_add_f32_e32 v61, v49, v39
	v_add_f32_e32 v126, v23, v22
	v_sub_f32_e32 v129, v21, v20
	v_mul_f32_e32 v51, 0xbf52af12, v9
	v_mul_f32_e32 v56, 0x3f62ad3f, v125
	v_fma_f32 v2, v63, s7, -v52
	v_fmac_f32_e32 v44, v14, v59
	v_fma_f32 v14, v15, v59, -v60
	v_fma_f32 v15, v13, v65, -v66
	v_sub_f32_e32 v64, v50, v38
	v_add_f32_e32 v66, v48, v41
	v_add_f32_e32 v130, v21, v20
	v_mul_f32_e32 v54, 0x3f116cb1, v126
	v_mul_f32_e32 v53, 0xbf7e222b, v129
	v_fma_f32 v3, v61, s6, -v51
	v_mov_b32_e32 v4, v56
	v_add_f32_e32 v2, v0, v2
	v_sub_f32_e32 v131, v19, v18
	v_sub_f32_e32 v62, v49, v39
	v_mul_f32_e32 v55, 0x3df6dbef, v130
	v_mov_b32_e32 v5, v54
	v_fma_f32 v6, v66, s8, -v53
	v_fmac_f32_e32 v4, 0xbeedf032, v64
	v_add_f32_e32 v2, v3, v2
	v_add_f32_e32 v76, v47, v42
	v_mul_f32_e32 v57, 0xbf6f5d39, v131
	v_add_f32_e32 v132, v19, v18
	v_sub_f32_e32 v67, v48, v41
	v_mov_b32_e32 v7, v55
	v_fmac_f32_e32 v5, 0xbf52af12, v62
	v_add_f32_e32 v3, v1, v4
	v_add_f32_e32 v2, v6, v2
	v_fma_f32 v4, v76, s9, -v57
	v_mul_f32_e32 v58, 0xbeb58ec6, v132
	v_add_f32_e32 v3, v5, v3
	v_fmac_f32_e32 v7, 0xbf7e222b, v67
	v_add_f32_e32 v2, v4, v2
	v_sub_f32_e32 v79, v47, v42
	v_mov_b32_e32 v4, v58
	v_sub_f32_e32 v133, v17, v16
	v_add_f32_e32 v3, v7, v3
	v_fmac_f32_e32 v4, 0xbf6f5d39, v79
	v_add_f32_e32 v83, v46, v43
	v_mul_f32_e32 v59, 0xbf29c268, v133
	v_add_f32_e32 v134, v17, v16
	v_add_f32_e32 v3, v4, v3
	v_fma_f32 v4, v83, s14, -v59
	v_mul_f32_e32 v60, 0xbf3f9e67, v134
	v_fmac_f32_e32 v45, v12, v65
	v_add_f32_e32 v2, v4, v2
	v_sub_f32_e32 v84, v46, v43
	v_mov_b32_e32 v4, v60
	v_sub_f32_e32 v135, v15, v14
	v_fmac_f32_e32 v4, 0xbf29c268, v84
	v_add_f32_e32 v94, v45, v44
	v_mul_f32_e32 v65, 0xbe750f2a, v135
	v_add_f32_e32 v136, v15, v14
	v_add_f32_e32 v3, v4, v3
	v_fma_f32 v4, v94, s15, -v65
	v_mul_f32_e32 v68, 0xbf788fa5, v136
	v_add_f32_e32 v2, v4, v2
	v_sub_f32_e32 v97, v45, v44
	v_mov_b32_e32 v4, v68
	v_fmac_f32_e32 v4, 0xbe750f2a, v97
	v_mul_f32_e32 v69, 0xbf52af12, v8
	v_add_f32_e32 v3, v4, v3
	v_fma_f32 v4, v63, s6, -v69
	v_mul_f32_e32 v70, 0xbf6f5d39, v9
	v_add_f32_e32 v4, v0, v4
	v_fma_f32 v5, v61, s9, -v70
	v_mul_f32_e32 v73, 0x3f116cb1, v125
	v_add_f32_e32 v4, v5, v4
	v_mov_b32_e32 v5, v73
	v_mul_f32_e32 v74, 0xbeb58ec6, v126
	v_fmac_f32_e32 v5, 0xbf52af12, v64
	v_mov_b32_e32 v6, v74
	v_add_f32_e32 v5, v1, v5
	v_fmac_f32_e32 v6, 0xbf6f5d39, v62
	v_mul_f32_e32 v71, 0xbe750f2a, v129
	v_add_f32_e32 v5, v6, v5
	v_fma_f32 v6, v66, s15, -v71
	v_mul_f32_e32 v77, 0xbf788fa5, v130
	v_add_f32_e32 v4, v6, v4
	v_mov_b32_e32 v6, v77
	v_fmac_f32_e32 v6, 0xbe750f2a, v67
	v_mul_f32_e32 v72, 0x3f29c268, v131
	v_add_f32_e32 v5, v6, v5
	v_fma_f32 v6, v76, s14, -v72
	v_mul_f32_e32 v80, 0xbf3f9e67, v132
	v_add_f32_e32 v4, v6, v4
	v_mov_b32_e32 v6, v80
	v_fmac_f32_e32 v6, 0x3f29c268, v79
	v_mul_f32_e32 v75, 0x3f7e222b, v133
	v_add_f32_e32 v5, v6, v5
	v_fma_f32 v6, v83, s8, -v75
	v_mul_f32_e32 v81, 0x3df6dbef, v134
	v_add_f32_e32 v4, v6, v4
	v_mov_b32_e32 v6, v81
	v_fmac_f32_e32 v6, 0x3f7e222b, v84
	v_mul_f32_e32 v78, 0x3eedf032, v135
	v_add_f32_e32 v5, v6, v5
	v_fma_f32 v6, v94, s7, -v78
	v_mul_f32_e32 v82, 0x3f62ad3f, v136
	v_add_f32_e32 v4, v6, v4
	v_mov_b32_e32 v6, v82
	v_fmac_f32_e32 v6, 0x3eedf032, v97
	v_mul_f32_e32 v85, 0xbf7e222b, v8
	v_add_f32_e32 v5, v6, v5
	v_fma_f32 v6, v63, s8, -v85
	v_mul_f32_e32 v86, 0xbe750f2a, v9
	v_add_f32_e32 v6, v0, v6
	v_fma_f32 v7, v61, s15, -v86
	v_mul_f32_e32 v89, 0x3df6dbef, v125
	v_add_f32_e32 v6, v7, v6
	v_mov_b32_e32 v7, v89
	v_mul_f32_e32 v90, 0xbf788fa5, v126
	v_fmac_f32_e32 v7, 0xbf7e222b, v64
	v_mov_b32_e32 v10, v90
	v_add_f32_e32 v7, v1, v7
	v_fmac_f32_e32 v10, 0xbe750f2a, v62
	v_mul_f32_e32 v87, 0x3f6f5d39, v129
	v_add_f32_e32 v7, v10, v7
	v_fma_f32 v10, v66, s9, -v87
	v_mul_f32_e32 v92, 0xbeb58ec6, v130
	v_add_f32_e32 v6, v10, v6
	v_mov_b32_e32 v10, v92
	v_fmac_f32_e32 v10, 0x3f6f5d39, v67
	v_mul_f32_e32 v88, 0x3eedf032, v131
	v_add_f32_e32 v7, v10, v7
	v_fma_f32 v10, v76, s7, -v88
	v_mul_f32_e32 v95, 0x3f62ad3f, v132
	v_add_f32_e32 v6, v10, v6
	v_mov_b32_e32 v10, v95
	v_fmac_f32_e32 v10, 0x3eedf032, v79
	v_mul_f32_e32 v91, 0xbf52af12, v133
	v_add_f32_e32 v7, v10, v7
	v_fma_f32 v10, v83, s6, -v91
	v_mul_f32_e32 v96, 0x3f116cb1, v134
	v_add_f32_e32 v6, v10, v6
	v_mov_b32_e32 v10, v96
	v_fmac_f32_e32 v10, 0xbf52af12, v84
	v_mul_f32_e32 v93, 0xbf29c268, v135
	v_add_f32_e32 v7, v10, v7
	v_fma_f32 v10, v94, s14, -v93
	v_mul_f32_e32 v98, 0xbf3f9e67, v136
	v_add_f32_e32 v6, v10, v6
	;; [unrolled: 42-line block ×3, first 2 shown]
	v_mov_b32_e32 v12, v110
	v_fmac_f32_e32 v12, 0x3f52af12, v97
	v_mul_f32_e32 v111, 0xbf29c268, v8
	v_add_f32_e32 v11, v12, v11
	v_fma_f32 v12, v63, s14, -v111
	v_mul_f32_e32 v112, 0x3f7e222b, v9
	v_add_f32_e32 v12, v0, v12
	v_fma_f32 v13, v61, s8, -v112
	v_mul_f32_e32 v115, 0xbf3f9e67, v125
	v_add_f32_e32 v12, v13, v12
	v_mov_b32_e32 v13, v115
	v_mul_f32_e32 v116, 0x3df6dbef, v126
	v_fmac_f32_e32 v13, 0xbf29c268, v64
	v_mov_b32_e32 v113, v116
	v_add_f32_e32 v13, v1, v13
	v_fmac_f32_e32 v113, 0x3f7e222b, v62
	v_add_f32_e32 v13, v113, v13
	v_mul_f32_e32 v113, 0xbf52af12, v129
	v_fma_f32 v114, v66, s6, -v113
	v_mul_f32_e32 v118, 0x3f116cb1, v130
	v_add_f32_e32 v12, v114, v12
	v_mov_b32_e32 v114, v118
	v_fmac_f32_e32 v114, 0xbf52af12, v67
	v_add_f32_e32 v13, v114, v13
	v_mul_f32_e32 v114, 0x3e750f2a, v131
	v_fma_f32 v117, v76, s15, -v114
	v_mul_f32_e32 v120, 0xbf788fa5, v132
	v_add_f32_e32 v12, v117, v12
	v_mov_b32_e32 v117, v120
	;; [unrolled: 7-line block ×3, first 2 shown]
	v_fmac_f32_e32 v119, 0x3eedf032, v84
	v_add_f32_e32 v13, v119, v13
	v_mul_f32_e32 v119, 0xbf6f5d39, v135
	v_fma_f32 v122, v94, s9, -v119
	v_add_f32_e32 v12, v122, v12
	v_mul_f32_e32 v122, 0xbeb58ec6, v136
	v_mov_b32_e32 v123, v122
	v_fmac_f32_e32 v123, 0xbf6f5d39, v97
	v_add_f32_e32 v13, v123, v13
	v_mul_f32_e32 v123, 0xbe750f2a, v8
	v_fma_f32 v8, v63, s15, -v123
	v_mul_f32_e32 v124, 0x3eedf032, v9
	v_add_f32_e32 v8, v0, v8
	v_fma_f32 v9, v61, s7, -v124
	v_mul_f32_e32 v127, 0xbf788fa5, v125
	v_add_f32_e32 v8, v9, v8
	v_mov_b32_e32 v9, v127
	v_mul_f32_e32 v128, 0x3f62ad3f, v126
	v_fmac_f32_e32 v9, 0xbe750f2a, v64
	v_mov_b32_e32 v125, v128
	v_add_f32_e32 v9, v1, v9
	v_fmac_f32_e32 v125, 0x3eedf032, v62
	v_add_f32_e32 v9, v125, v9
	v_mul_f32_e32 v125, 0xbf29c268, v129
	v_fma_f32 v126, v66, s14, -v125
	v_mul_f32_e32 v130, 0xbf3f9e67, v130
	v_add_f32_e32 v8, v126, v8
	v_mov_b32_e32 v126, v130
	v_fmac_f32_e32 v126, 0xbf29c268, v67
	v_add_f32_e32 v9, v126, v9
	v_mul_f32_e32 v126, 0x3f52af12, v131
	v_fma_f32 v129, v76, s6, -v126
	v_mul_f32_e32 v132, 0x3f116cb1, v132
	v_add_f32_e32 v8, v129, v8
	v_mov_b32_e32 v129, v132
	;; [unrolled: 7-line block ×3, first 2 shown]
	v_fmac_f32_e32 v131, 0xbf6f5d39, v84
	v_add_f32_e32 v9, v131, v9
	v_mul_f32_e32 v131, 0x3f7e222b, v135
	v_mul_f32_e32 v134, 0x3df6dbef, v136
	v_fma_f32 v135, v94, s8, -v131
	v_add_f32_e32 v8, v135, v8
	v_mov_b32_e32 v135, v134
	v_fmac_f32_e32 v135, 0x3f7e222b, v97
	v_add_f32_e32 v9, v135, v9
	s_and_saveexec_b64 s[6:7], s[2:3]
	s_cbranch_execz .LBB0_19
; %bb.18:
	v_mul_f32_e32 v135, 0x3f62ad3f, v63
	v_mul_f32_e32 v137, 0x3f116cb1, v63
	;; [unrolled: 1-line block ×18, first 2 shown]
	v_add_f32_e32 v63, v63, v123
	v_mul_f32_e32 v146, 0xbf52af12, v62
	v_mul_f32_e32 v148, 0xbf6f5d39, v62
	;; [unrolled: 1-line block ×12, first 2 shown]
	v_sub_f32_e32 v64, v127, v64
	v_add_f32_e32 v63, v0, v63
	v_add_f32_e32 v61, v61, v124
	v_mul_f32_e32 v156, 0xbf7e222b, v67
	v_mul_f32_e32 v158, 0xbe750f2a, v67
	v_mul_f32_e32 v160, 0x3f6f5d39, v67
	v_mul_f32_e32 v162, 0x3eedf032, v67
	v_mul_f32_e32 v164, 0xbf52af12, v67
	v_mul_f32_e32 v67, 0xbf29c268, v67
	v_mul_f32_e32 v165, 0xbeb58ec6, v76
	v_mul_f32_e32 v167, 0xbf3f9e67, v76
	v_mul_f32_e32 v169, 0x3f62ad3f, v76
	v_mul_f32_e32 v171, 0x3df6dbef, v76
	v_mul_f32_e32 v173, 0xbf788fa5, v76
	v_mul_f32_e32 v76, 0x3f116cb1, v76
	v_add_f32_e32 v64, v1, v64
	v_sub_f32_e32 v62, v128, v62
	v_add_f32_e32 v61, v61, v63
	v_add_f32_e32 v63, v66, v125
	v_mul_f32_e32 v166, 0xbf6f5d39, v79
	v_mul_f32_e32 v168, 0x3f29c268, v79
	v_mul_f32_e32 v170, 0x3eedf032, v79
	v_mul_f32_e32 v172, 0xbf7e222b, v79
	v_mul_f32_e32 v174, 0x3e750f2a, v79
	v_mul_f32_e32 v79, 0x3f52af12, v79
	v_mul_f32_e32 v175, 0xbf3f9e67, v83
	v_mul_f32_e32 v177, 0x3df6dbef, v83
	v_mul_f32_e32 v179, 0x3f116cb1, v83
	v_mul_f32_e32 v181, 0xbf788fa5, v83
	v_mul_f32_e32 v183, 0x3f62ad3f, v83
	v_mul_f32_e32 v83, 0xbeb58ec6, v83
	v_add_f32_e32 v62, v62, v64
	;; [unrolled: 16-line block ×3, first 2 shown]
	v_sub_f32_e32 v64, v132, v79
	v_add_f32_e32 v61, v63, v61
	v_add_f32_e32 v63, v83, v129
	v_mul_f32_e32 v186, 0xbe750f2a, v97
	v_mul_f32_e32 v188, 0x3eedf032, v97
	;; [unrolled: 1-line block ×6, first 2 shown]
	v_add_f32_e32 v62, v64, v62
	v_sub_f32_e32 v64, v133, v84
	v_add_f32_e32 v61, v63, v61
	v_add_f32_e32 v63, v94, v131
	;; [unrolled: 1-line block ×3, first 2 shown]
	v_sub_f32_e32 v64, v134, v97
	v_add_f32_e32 v61, v63, v61
	v_sub_f32_e32 v63, v115, v144
	v_add_f32_e32 v62, v64, v62
	v_add_f32_e32 v63, v1, v63
	v_sub_f32_e32 v64, v116, v154
	v_add_f32_e32 v63, v64, v63
	v_sub_f32_e32 v64, v118, v164
	;; [unrolled: 2-line block ×5, first 2 shown]
	v_add_f32_e32 v64, v64, v63
	v_add_f32_e32 v63, v143, v111
	;; [unrolled: 1-line block ×13, first 2 shown]
	v_sub_f32_e32 v66, v103, v142
	v_add_f32_e32 v66, v1, v66
	v_sub_f32_e32 v67, v104, v152
	v_add_f32_e32 v66, v67, v66
	;; [unrolled: 2-line block ×6, first 2 shown]
	v_add_f32_e32 v66, v141, v99
	v_add_f32_e32 v66, v0, v66
	;; [unrolled: 1-line block ×12, first 2 shown]
	v_sub_f32_e32 v76, v89, v140
	v_add_f32_e32 v76, v1, v76
	v_sub_f32_e32 v79, v90, v150
	v_add_f32_e32 v76, v79, v76
	;; [unrolled: 2-line block ×6, first 2 shown]
	v_add_f32_e32 v76, v139, v85
	v_sub_f32_e32 v73, v73, v138
	v_add_f32_e32 v69, v137, v69
	v_sub_f32_e32 v56, v56, v136
	v_add_f32_e32 v52, v135, v52
	v_add_f32_e32 v76, v0, v76
	;; [unrolled: 1-line block ×18, first 2 shown]
	v_sub_f32_e32 v54, v54, v146
	v_add_f32_e32 v51, v145, v51
	v_add_f32_e32 v1, v1, v14
	v_add_f32_e32 v0, v0, v44
	v_add_f32_e32 v79, v149, v86
	v_sub_f32_e32 v74, v74, v148
	v_add_f32_e32 v70, v147, v70
	v_add_f32_e32 v54, v54, v56
	v_sub_f32_e32 v55, v55, v156
	v_add_f32_e32 v51, v51, v52
	v_add_f32_e32 v52, v155, v53
	;; [unrolled: 1-line block ×7, first 2 shown]
	v_sub_f32_e32 v74, v77, v158
	v_add_f32_e32 v69, v70, v69
	v_add_f32_e32 v70, v157, v71
	v_add_f32_e32 v54, v55, v54
	v_sub_f32_e32 v55, v58, v166
	v_add_f32_e32 v51, v52, v51
	v_add_f32_e32 v52, v165, v57
	;; [unrolled: 1-line block ×4, first 2 shown]
	v_lshrrev_b32_e32 v14, 1, v28
	v_add_f32_e32 v76, v79, v76
	v_add_f32_e32 v79, v169, v88
	;; [unrolled: 1-line block ×3, first 2 shown]
	v_sub_f32_e32 v74, v80, v168
	v_add_f32_e32 v69, v70, v69
	v_add_f32_e32 v70, v167, v72
	;; [unrolled: 1-line block ×3, first 2 shown]
	v_sub_f32_e32 v55, v60, v176
	v_add_f32_e32 v51, v52, v51
	v_add_f32_e32 v52, v175, v59
	;; [unrolled: 1-line block ×4, first 2 shown]
	v_mul_u32_u24_e32 v14, 26, v14
	v_add_f32_e32 v76, v79, v76
	v_add_f32_e32 v79, v179, v91
	;; [unrolled: 1-line block ×3, first 2 shown]
	v_sub_f32_e32 v74, v81, v178
	v_add_f32_e32 v69, v70, v69
	v_add_f32_e32 v70, v177, v75
	;; [unrolled: 1-line block ×3, first 2 shown]
	v_sub_f32_e32 v55, v68, v186
	v_add_f32_e32 v51, v52, v51
	v_add_f32_e32 v52, v185, v65
	;; [unrolled: 1-line block ×4, first 2 shown]
	v_or_b32_e32 v14, v14, v31
	v_add_f32_e32 v76, v79, v76
	v_add_f32_e32 v79, v189, v93
	;; [unrolled: 1-line block ×3, first 2 shown]
	v_sub_f32_e32 v74, v82, v188
	v_add_f32_e32 v69, v70, v69
	v_add_f32_e32 v70, v187, v78
	;; [unrolled: 1-line block ×6, first 2 shown]
	v_lshl_add_u32 v14, v14, 3, 0
	v_add_f32_e32 v83, v79, v76
	v_add_f32_e32 v73, v74, v73
	;; [unrolled: 1-line block ×3, first 2 shown]
	ds_write2_b64 v14, v[0:1], v[53:54] offset1:2
	ds_write2_b64 v14, v[72:73], v[83:84] offset0:4 offset1:6
	ds_write2_b64 v14, v[66:67], v[63:64] offset0:8 offset1:10
	;; [unrolled: 1-line block ×5, first 2 shown]
	ds_write_b64 v14, v[2:3] offset:192
.LBB0_19:
	s_or_b64 exec, exec, s[6:7]
	s_waitcnt lgkmcnt(0)
	s_barrier
	ds_read_b64 v[14:15], v40
	ds_read_b64 v[38:39], v40 offset:2288
	ds_read_b64 v[36:37], v40 offset:4576
	;; [unrolled: 1-line block ×6, first 2 shown]
	s_movk_i32 s2, 0x68
	v_cmp_gt_u32_e64 s[2:3], s2, v28
	v_lshl_add_u32 v41, v30, 3, 0
                                        ; implicit-def: $vgpr1
	s_and_saveexec_b64 s[6:7], s[2:3]
	s_cbranch_execz .LBB0_21
; %bb.20:
	v_add_u32_e32 v0, 0x1400, v40
	ds_read_b64 v[8:9], v41
	ds_read2_b32 v[10:11], v0 offset0:228 offset1:229
	ds_read_b64 v[12:13], v40 offset:3744
	ds_read_b64 v[6:7], v40 offset:8320
	;; [unrolled: 1-line block ×5, first 2 shown]
.LBB0_21:
	s_or_b64 exec, exec, s[6:7]
	s_movk_i32 s6, 0x4f
	v_mul_lo_u16_sdwa v31, v28, s6 dst_sel:DWORD dst_unused:UNUSED_PAD src0_sel:BYTE_0 src1_sel:DWORD
	v_lshrrev_b16_e32 v31, 11, v31
	v_mul_lo_u16_e32 v42, 26, v31
	v_sub_u16_e32 v54, v28, v42
	v_mov_b32_e32 v42, 6
	v_mul_u32_u24_sdwa v42, v54, v42 dst_sel:DWORD dst_unused:UNUSED_PAD src0_sel:BYTE_0 src1_sel:DWORD
	v_lshlrev_b32_e32 v55, 3, v42
	global_load_dwordx4 v[42:45], v55, s[12:13] offset:192
	global_load_dwordx4 v[46:49], v55, s[12:13] offset:208
	global_load_dwordx4 v[50:53], v55, s[12:13] offset:224
	s_mov_b32 s8, 0xbf5ff5aa
	s_mov_b32 s9, 0x3f3bfb3b
	;; [unrolled: 1-line block ×4, first 2 shown]
	v_mul_u32_u24_e32 v31, 0x5b0, v31
	s_waitcnt vmcnt(0) lgkmcnt(0)
	s_barrier
	v_mul_f32_e32 v55, v43, v39
	v_mul_f32_e32 v43, v43, v38
	;; [unrolled: 1-line block ×12, first 2 shown]
	v_fmac_f32_e32 v55, v42, v38
	v_fma_f32 v38, v42, v39, -v43
	v_fmac_f32_e32 v56, v44, v36
	v_fma_f32 v36, v44, v37, -v45
	v_fmac_f32_e32 v59, v50, v18
	v_fma_f32 v18, v50, v19, -v51
	v_fmac_f32_e32 v60, v52, v16
	v_fma_f32 v16, v52, v17, -v53
	v_fmac_f32_e32 v57, v46, v22
	v_fma_f32 v22, v46, v23, -v47
	v_fmac_f32_e32 v58, v48, v20
	v_fma_f32 v20, v48, v21, -v49
	v_add_f32_e32 v17, v55, v60
	v_add_f32_e32 v19, v38, v16
	;; [unrolled: 1-line block ×4, first 2 shown]
	v_sub_f32_e32 v16, v38, v16
	v_sub_f32_e32 v38, v56, v59
	v_sub_f32_e32 v18, v36, v18
	v_add_f32_e32 v36, v57, v58
	v_add_f32_e32 v39, v22, v20
	v_sub_f32_e32 v42, v58, v57
	v_sub_f32_e32 v20, v20, v22
	v_add_f32_e32 v22, v23, v17
	v_add_f32_e32 v43, v37, v19
	v_sub_f32_e32 v21, v55, v60
	v_sub_f32_e32 v44, v23, v17
	;; [unrolled: 1-line block ×7, first 2 shown]
	v_add_f32_e32 v46, v42, v38
	v_add_f32_e32 v47, v20, v18
	v_sub_f32_e32 v48, v42, v38
	v_sub_f32_e32 v49, v20, v18
	v_add_f32_e32 v22, v36, v22
	v_add_f32_e32 v36, v39, v43
	v_sub_f32_e32 v42, v21, v42
	v_sub_f32_e32 v20, v16, v20
	;; [unrolled: 1-line block ×4, first 2 shown]
	v_add_f32_e32 v21, v46, v21
	v_add_f32_e32 v16, v47, v16
	v_mul_f32_e32 v17, 0x3f4a47b2, v17
	v_mul_f32_e32 v19, 0x3f4a47b2, v19
	;; [unrolled: 1-line block ×6, first 2 shown]
	v_add_f32_e32 v14, v22, v14
	v_add_f32_e32 v15, v36, v15
	v_mul_f32_e32 v48, 0xbf5ff5aa, v38
	v_mul_f32_e32 v49, 0xbf5ff5aa, v18
	v_fma_f32 v39, v44, s9, -v39
	v_fma_f32 v43, v45, s9, -v43
	;; [unrolled: 1-line block ×3, first 2 shown]
	v_fmac_f32_e32 v17, 0x3d64c772, v23
	v_fma_f32 v23, v45, s14, -v19
	v_fmac_f32_e32 v19, 0x3d64c772, v37
	v_fma_f32 v37, v38, s8, -v46
	v_fma_f32 v38, v18, s8, -v47
	v_mov_b32_e32 v18, v14
	v_mov_b32_e32 v45, v15
	v_fmac_f32_e32 v46, 0xbeae86e6, v42
	v_fmac_f32_e32 v18, 0xbf955555, v22
	;; [unrolled: 1-line block ×3, first 2 shown]
	v_fma_f32 v42, v42, s15, -v48
	v_add_f32_e32 v22, v39, v18
	v_add_f32_e32 v39, v43, v45
	;; [unrolled: 1-line block ×4, first 2 shown]
	v_fmac_f32_e32 v37, 0xbee1c552, v21
	v_fmac_f32_e32 v42, 0xbee1c552, v21
	;; [unrolled: 1-line block ×3, first 2 shown]
	v_fma_f32 v36, v20, s15, -v49
	v_add_f32_e32 v49, v19, v45
	v_fmac_f32_e32 v46, 0xbee1c552, v21
	v_sub_f32_e32 v19, v44, v42
	v_add_f32_e32 v21, v37, v39
	v_sub_f32_e32 v23, v39, v37
	v_add_f32_e32 v37, v42, v44
	v_mov_b32_e32 v42, 3
	v_add_f32_e32 v48, v17, v18
	v_fmac_f32_e32 v47, 0xbee1c552, v16
	v_lshlrev_b32_sdwa v42, v42, v54 dst_sel:DWORD dst_unused:UNUSED_PAD src0_sel:DWORD src1_sel:BYTE_0
	v_fmac_f32_e32 v38, 0xbee1c552, v16
	v_fmac_f32_e32 v36, 0xbee1c552, v16
	v_add_f32_e32 v16, v47, v48
	v_sub_f32_e32 v17, v49, v46
	v_add3_u32 v31, 0, v31, v42
	v_add_f32_e32 v18, v36, v43
	v_sub_f32_e32 v20, v22, v38
	v_add_f32_e32 v22, v38, v22
	v_sub_f32_e32 v36, v43, v36
	v_sub_f32_e32 v38, v48, v47
	v_add_f32_e32 v39, v46, v49
	ds_write2_b64 v31, v[14:15], v[16:17] offset1:26
	ds_write2_b64 v31, v[18:19], v[20:21] offset0:52 offset1:78
	ds_write2_b64 v31, v[22:23], v[36:37] offset0:104 offset1:130
	ds_write_b64 v31, v[38:39] offset:1248
	s_and_saveexec_b64 s[6:7], s[2:3]
	s_cbranch_execz .LBB0_23
; %bb.22:
	s_movk_i32 s2, 0x4ec5
	v_mul_u32_u24_sdwa v14, v30, s2 dst_sel:DWORD dst_unused:UNUSED_PAD src0_sel:WORD_0 src1_sel:DWORD
	v_lshrrev_b32_e32 v22, 19, v14
	v_mul_lo_u16_e32 v14, 26, v22
	v_sub_u16_e32 v23, v30, v14
	v_mul_u32_u24_e32 v14, 6, v23
	v_lshlrev_b32_e32 v31, 3, v14
	global_load_dwordx4 v[14:17], v31, s[12:13] offset:192
	global_load_dwordx4 v[18:21], v31, s[12:13] offset:224
	;; [unrolled: 1-line block ×3, first 2 shown]
	s_waitcnt vmcnt(2)
	v_mul_f32_e32 v31, v13, v15
	s_waitcnt vmcnt(1)
	v_mul_f32_e32 v42, v1, v21
	v_mul_f32_e32 v45, v11, v17
	;; [unrolled: 1-line block ×3, first 2 shown]
	s_waitcnt vmcnt(0)
	v_mul_f32_e32 v43, v5, v39
	v_mul_f32_e32 v44, v7, v37
	;; [unrolled: 1-line block ×8, first 2 shown]
	v_fmac_f32_e32 v31, v12, v14
	v_fmac_f32_e32 v42, v0, v20
	;; [unrolled: 1-line block ×6, first 2 shown]
	v_fma_f32 v0, v1, v20, -v21
	v_fma_f32 v1, v13, v14, -v15
	;; [unrolled: 1-line block ×6, first 2 shown]
	v_add_f32_e32 v14, v31, v42
	v_add_f32_e32 v16, v45, v46
	v_sub_f32_e32 v7, v43, v44
	v_sub_f32_e32 v10, v45, v46
	v_add_f32_e32 v11, v1, v0
	v_add_f32_e32 v12, v2, v4
	;; [unrolled: 1-line block ×4, first 2 shown]
	v_sub_f32_e32 v17, v1, v0
	v_sub_f32_e32 v0, v4, v2
	;; [unrolled: 1-line block ×3, first 2 shown]
	v_add_f32_e32 v21, v16, v14
	v_sub_f32_e32 v6, v31, v42
	v_add_f32_e32 v3, v7, v10
	v_sub_f32_e32 v5, v11, v12
	;; [unrolled: 2-line block ×3, first 2 shown]
	v_sub_f32_e32 v20, v15, v16
	v_sub_f32_e32 v31, v17, v0
	v_sub_f32_e32 v36, v0, v4
	v_add_f32_e32 v0, v0, v4
	v_add_f32_e32 v15, v15, v21
	v_sub_f32_e32 v2, v6, v7
	v_sub_f32_e32 v1, v7, v10
	;; [unrolled: 1-line block ×4, first 2 shown]
	v_add_f32_e32 v6, v3, v6
	v_mul_f32_e32 v3, 0x3f4a47b2, v5
	v_add_f32_e32 v5, v12, v18
	v_mul_f32_e32 v12, 0x3f4a47b2, v19
	v_add_f32_e32 v21, v0, v17
	v_add_f32_e32 v0, v8, v15
	v_sub_f32_e32 v11, v13, v11
	v_sub_f32_e32 v13, v16, v14
	v_mul_f32_e32 v14, 0x3f08b237, v1
	v_add_f32_e32 v1, v9, v5
	v_mov_b32_e32 v9, v12
	v_mov_b32_e32 v8, v0
	v_fmac_f32_e32 v9, 0x3d64c772, v20
	v_fmac_f32_e32 v8, 0xbf955555, v15
	v_mul_f32_e32 v18, 0x3d64c772, v20
	v_mul_f32_e32 v19, 0x3f08b237, v36
	;; [unrolled: 1-line block ×3, first 2 shown]
	v_mov_b32_e32 v37, v14
	v_add_f32_e32 v20, v9, v8
	v_fma_f32 v9, v13, s14, -v12
	v_mov_b32_e32 v38, v3
	v_fma_f32 v36, v2, s15, -v36
	v_fmac_f32_e32 v37, 0xbeae86e6, v2
	v_add_f32_e32 v12, v9, v8
	v_sub_f32_e32 v9, v4, v17
	v_fma_f32 v10, v10, s8, -v14
	v_mul_f32_e32 v16, 0x3d64c772, v7
	v_fmac_f32_e32 v38, 0x3d64c772, v7
	v_mov_b32_e32 v7, v1
	v_fmac_f32_e32 v36, 0xbee1c552, v6
	v_fmac_f32_e32 v37, 0xbee1c552, v6
	;; [unrolled: 1-line block ×3, first 2 shown]
	v_fma_f32 v14, v9, s8, -v19
	v_fma_f32 v6, v13, s9, -v18
	v_mov_b32_e32 v39, v19
	v_fmac_f32_e32 v7, 0xbf955555, v5
	v_mul_f32_e32 v4, 0xbf5ff5aa, v9
	v_fmac_f32_e32 v14, 0xbee1c552, v21
	v_add_f32_e32 v8, v6, v8
	v_fma_f32 v3, v11, s14, -v3
	v_fmac_f32_e32 v39, 0xbeae86e6, v31
	v_add_f32_e32 v15, v38, v7
	v_fma_f32 v17, v31, s15, -v4
	v_fma_f32 v11, v11, s9, -v16
	v_add_f32_e32 v6, v14, v8
	v_sub_f32_e32 v8, v8, v14
	v_mul_lo_u16_e32 v14, 0xb6, v22
	v_fmac_f32_e32 v39, 0xbee1c552, v21
	v_add_f32_e32 v38, v3, v7
	v_add_f32_e32 v3, v37, v15
	v_fmac_f32_e32 v17, 0xbee1c552, v21
	v_add_f32_e32 v11, v11, v7
	v_sub_f32_e32 v13, v15, v37
	v_lshlrev_b32_e32 v15, 3, v23
	v_lshlrev_b32_e32 v14, 3, v14
	v_sub_f32_e32 v4, v12, v17
	v_sub_f32_e32 v7, v11, v10
	v_add_f32_e32 v9, v10, v11
	v_add_f32_e32 v10, v17, v12
	;; [unrolled: 1-line block ×3, first 2 shown]
	v_add3_u32 v14, 0, v15, v14
	v_sub_f32_e32 v2, v20, v39
	v_add_f32_e32 v5, v36, v38
	v_sub_f32_e32 v11, v38, v36
	ds_write2_b64 v14, v[0:1], v[12:13] offset1:26
	ds_write2_b64 v14, v[10:11], v[8:9] offset0:52 offset1:78
	ds_write2_b64 v14, v[6:7], v[4:5] offset0:104 offset1:130
	ds_write_b64 v14, v[2:3] offset:1248
.LBB0_23:
	s_or_b64 exec, exec, s[6:7]
	v_mul_u32_u24_e32 v0, 10, v28
	v_lshlrev_b32_e32 v4, 3, v0
	s_waitcnt lgkmcnt(0)
	s_barrier
	global_load_dwordx4 v[0:3], v4, s[12:13] offset:1440
	global_load_dwordx4 v[8:11], v4, s[12:13] offset:1456
	;; [unrolled: 1-line block ×5, first 2 shown]
	ds_read_b64 v[46:47], v40
	ds_read_b64 v[48:49], v41
	v_lshl_add_u32 v6, v34, 3, 0
	v_lshl_add_u32 v7, v35, 3, 0
	v_lshl_add_u32 v5, v33, 3, 0
	v_lshl_add_u32 v4, v32, 3, 0
	v_add_u32_e32 v31, 0x2000, v40
	v_add_u32_e32 v60, 0x2c00, v40
	ds_read_b64 v[50:51], v6
	ds_read_b64 v[52:53], v5
	;; [unrolled: 1-line block ×3, first 2 shown]
	ds_read2_b64 v[36:39], v31 offset0:68 offset1:250
	ds_read_b64 v[56:57], v7
	ds_read2_b64 v[42:45], v60 offset0:48 offset1:230
	ds_read_b64 v[58:59], v40 offset:14560
	s_mov_b32 s2, 0x3f575c64
	s_mov_b32 s3, 0x3ed4b147
	;; [unrolled: 1-line block ×5, first 2 shown]
	s_waitcnt vmcnt(0) lgkmcnt(0)
	s_barrier
	v_mul_f32_e32 v61, v1, v49
	v_mul_f32_e32 v1, v1, v48
	;; [unrolled: 1-line block ×12, first 2 shown]
	v_fmac_f32_e32 v61, v0, v48
	v_fma_f32 v0, v0, v49, -v1
	v_mul_f32_e32 v65, v13, v55
	v_mul_f32_e32 v13, v13, v54
	;; [unrolled: 1-line block ×6, first 2 shown]
	v_fmac_f32_e32 v62, v2, v56
	v_fma_f32 v2, v2, v57, -v3
	v_fmac_f32_e32 v63, v8, v50
	v_fma_f32 v3, v8, v51, -v9
	;; [unrolled: 2-line block ×4, first 2 shown]
	v_fma_f32 v1, v59, v22, -v23
	v_add_f32_e32 v14, v61, v46
	v_add_f32_e32 v15, v0, v47
	v_fmac_f32_e32 v65, v12, v54
	v_fma_f32 v9, v12, v55, -v13
	v_fma_f32 v11, v39, v16, -v17
	;; [unrolled: 1-line block ×3, first 2 shown]
	v_add_f32_e32 v17, v0, v1
	v_sub_f32_e32 v19, v0, v1
	v_add_f32_e32 v0, v14, v62
	v_add_f32_e32 v14, v15, v2
	;; [unrolled: 1-line block ×6, first 2 shown]
	v_mul_f32_e32 v69, v45, v21
	v_mul_f32_e32 v21, v44, v21
	v_add_f32_e32 v14, v14, v11
	v_fma_f32 v13, v45, v20, -v21
	v_add_f32_e32 v14, v14, v12
	v_fmac_f32_e32 v67, v38, v16
	v_fmac_f32_e32 v69, v44, v20
	;; [unrolled: 1-line block ×3, first 2 shown]
	v_mul_f32_e32 v15, 0xbf0a6770, v19
	v_add_f32_e32 v14, v14, v13
	v_mul_f32_e32 v22, 0xbf68dda4, v19
	v_mul_f32_e32 v38, 0xbf7d64f0, v19
	;; [unrolled: 1-line block ×4, first 2 shown]
	v_fmac_f32_e32 v68, v42, v18
	v_add_f32_e32 v16, v61, v70
	v_mov_b32_e32 v20, v15
	v_add_f32_e32 v1, v14, v1
	v_mul_f32_e32 v14, 0x3f575c64, v17
	v_mov_b32_e32 v23, v22
	v_mul_f32_e32 v36, 0x3ed4b147, v17
	v_mov_b32_e32 v39, v38
	;; [unrolled: 2-line block ×4, first 2 shown]
	v_mul_f32_e32 v17, 0xbf75a155, v17
	v_sub_f32_e32 v18, v61, v70
	v_fmac_f32_e32 v20, 0x3f575c64, v16
	v_mov_b32_e32 v21, v14
	v_fma_f32 v15, v16, s2, -v15
	v_fmac_f32_e32 v23, 0x3ed4b147, v16
	v_mov_b32_e32 v37, v36
	v_fma_f32 v22, v16, s3, -v22
	;; [unrolled: 3-line block ×5, first 2 shown]
	v_add_f32_e32 v19, v2, v13
	v_sub_f32_e32 v2, v2, v13
	v_fmac_f32_e32 v21, 0x3f0a6770, v18
	v_fmac_f32_e32 v14, 0xbf0a6770, v18
	;; [unrolled: 1-line block ×10, first 2 shown]
	v_mul_f32_e32 v13, 0xbf68dda4, v2
	v_add_f32_e32 v21, v21, v47
	v_add_f32_e32 v14, v14, v47
	;; [unrolled: 1-line block ×11, first 2 shown]
	v_mov_b32_e32 v47, v13
	v_add_f32_e32 v20, v20, v46
	v_fmac_f32_e32 v47, 0x3ed4b147, v18
	v_add_f32_e32 v15, v15, v46
	v_add_f32_e32 v23, v23, v46
	;; [unrolled: 1-line block ×9, first 2 shown]
	v_sub_f32_e32 v46, v62, v69
	v_add_f32_e32 v20, v47, v20
	v_mul_f32_e32 v47, 0x3ed4b147, v19
	v_fma_f32 v13, v18, s3, -v13
	v_mov_b32_e32 v52, v47
	v_add_f32_e32 v13, v13, v15
	v_fmac_f32_e32 v47, 0xbf68dda4, v46
	v_mul_f32_e32 v15, 0xbf4178ce, v2
	v_add_f32_e32 v14, v47, v14
	v_mov_b32_e32 v47, v15
	v_fmac_f32_e32 v47, 0xbf27a4f4, v18
	v_fmac_f32_e32 v52, 0x3f68dda4, v46
	v_add_f32_e32 v23, v47, v23
	v_mul_f32_e32 v47, 0xbf27a4f4, v19
	v_add_f32_e32 v21, v52, v21
	v_mov_b32_e32 v52, v47
	v_fma_f32 v15, v18, s7, -v15
	v_fmac_f32_e32 v47, 0xbf4178ce, v46
	v_add_f32_e32 v15, v15, v22
	v_add_f32_e32 v22, v47, v36
	v_mul_f32_e32 v36, 0x3e903f40, v2
	v_mov_b32_e32 v47, v36
	v_fmac_f32_e32 v47, 0xbf75a155, v18
	v_fmac_f32_e32 v52, 0x3f4178ce, v46
	v_add_f32_e32 v39, v47, v39
	v_mul_f32_e32 v47, 0xbf75a155, v19
	v_add_f32_e32 v37, v52, v37
	v_mov_b32_e32 v52, v47
	v_fma_f32 v36, v18, s8, -v36
	v_fmac_f32_e32 v47, 0x3e903f40, v46
	v_add_f32_e32 v36, v36, v38
	v_add_f32_e32 v38, v47, v42
	v_mul_f32_e32 v42, 0x3f7d64f0, v2
	v_mov_b32_e32 v47, v42
	v_fmac_f32_e32 v47, 0xbe11bafb, v18
	v_fmac_f32_e32 v52, 0xbe903f40, v46
	v_add_f32_e32 v45, v47, v45
	v_mul_f32_e32 v47, 0xbe11bafb, v19
	v_add_f32_e32 v43, v52, v43
	v_mov_b32_e32 v52, v47
	v_fma_f32 v42, v18, s6, -v42
	v_fmac_f32_e32 v47, 0x3f7d64f0, v46
	v_mul_f32_e32 v2, 0x3f0a6770, v2
	v_add_f32_e32 v42, v42, v44
	v_add_f32_e32 v44, v47, v48
	v_mov_b32_e32 v47, v2
	v_fmac_f32_e32 v47, 0x3f575c64, v18
	v_mul_f32_e32 v19, 0x3f575c64, v19
	v_fma_f32 v2, v18, s2, -v2
	v_add_f32_e32 v18, v3, v12
	v_sub_f32_e32 v3, v3, v12
	v_mov_b32_e32 v48, v19
	v_fmac_f32_e32 v19, 0x3f0a6770, v46
	v_mul_f32_e32 v12, 0xbf7d64f0, v3
	v_fmac_f32_e32 v52, 0xbf7d64f0, v46
	v_fmac_f32_e32 v48, 0xbf0a6770, v46
	v_add_f32_e32 v2, v2, v16
	v_add_f32_e32 v16, v19, v17
	;; [unrolled: 1-line block ×3, first 2 shown]
	v_mov_b32_e32 v46, v12
	v_fmac_f32_e32 v46, 0xbe11bafb, v17
	v_sub_f32_e32 v19, v63, v68
	v_add_f32_e32 v20, v46, v20
	v_mul_f32_e32 v46, 0xbe11bafb, v18
	v_add_f32_e32 v47, v47, v50
	v_mov_b32_e32 v50, v46
	v_fma_f32 v12, v17, s6, -v12
	v_fmac_f32_e32 v46, 0xbf7d64f0, v19
	v_add_f32_e32 v12, v12, v13
	v_add_f32_e32 v13, v46, v14
	v_mul_f32_e32 v14, 0x3e903f40, v3
	v_mov_b32_e32 v46, v14
	v_fmac_f32_e32 v46, 0xbf75a155, v17
	v_fmac_f32_e32 v50, 0x3f7d64f0, v19
	v_add_f32_e32 v23, v46, v23
	v_mul_f32_e32 v46, 0xbf75a155, v18
	v_add_f32_e32 v21, v50, v21
	v_mov_b32_e32 v50, v46
	v_fma_f32 v14, v17, s8, -v14
	v_fmac_f32_e32 v46, 0x3e903f40, v19
	v_add_f32_e32 v14, v14, v15
	v_add_f32_e32 v15, v46, v22
	v_mul_f32_e32 v22, 0x3f68dda4, v3
	v_mov_b32_e32 v46, v22
	v_fmac_f32_e32 v46, 0x3ed4b147, v17
	v_fmac_f32_e32 v50, 0xbe903f40, v19
	;; [unrolled: 12-line block ×3, first 2 shown]
	v_add_f32_e32 v45, v46, v45
	v_mul_f32_e32 v46, 0x3f575c64, v18
	v_add_f32_e32 v43, v50, v43
	v_mov_b32_e32 v50, v46
	v_fma_f32 v38, v17, s2, -v38
	v_fmac_f32_e32 v46, 0xbf0a6770, v19
	v_mul_f32_e32 v3, 0xbf4178ce, v3
	v_add_f32_e32 v38, v38, v42
	v_add_f32_e32 v42, v46, v44
	v_mov_b32_e32 v44, v3
	v_fmac_f32_e32 v44, 0xbf27a4f4, v17
	v_mul_f32_e32 v18, 0xbf27a4f4, v18
	v_fma_f32 v3, v17, s7, -v3
	v_add_f32_e32 v17, v8, v11
	v_sub_f32_e32 v8, v8, v11
	v_mov_b32_e32 v46, v18
	v_fmac_f32_e32 v18, 0xbf4178ce, v19
	v_mul_f32_e32 v11, 0xbf4178ce, v8
	v_fmac_f32_e32 v50, 0x3f0a6770, v19
	v_fmac_f32_e32 v46, 0x3f4178ce, v19
	v_add_f32_e32 v2, v3, v2
	v_add_f32_e32 v3, v18, v16
	;; [unrolled: 1-line block ×3, first 2 shown]
	v_mov_b32_e32 v19, v11
	v_fmac_f32_e32 v19, 0xbf27a4f4, v16
	v_sub_f32_e32 v18, v64, v67
	v_add_f32_e32 v19, v19, v20
	v_mul_f32_e32 v20, 0xbf27a4f4, v17
	v_add_f32_e32 v44, v44, v47
	v_mov_b32_e32 v47, v20
	v_fma_f32 v11, v16, s7, -v11
	v_fmac_f32_e32 v20, 0xbf4178ce, v18
	v_add_f32_e32 v11, v11, v12
	v_add_f32_e32 v12, v20, v13
	v_mul_f32_e32 v13, 0x3f7d64f0, v8
	v_mov_b32_e32 v20, v13
	v_fmac_f32_e32 v20, 0xbe11bafb, v16
	v_fmac_f32_e32 v47, 0x3f4178ce, v18
	v_add_f32_e32 v20, v20, v23
	v_mul_f32_e32 v23, 0xbe11bafb, v17
	v_add_f32_e32 v21, v47, v21
	v_mov_b32_e32 v47, v23
	v_fma_f32 v13, v16, s6, -v13
	v_fmac_f32_e32 v23, 0x3f7d64f0, v18
	v_add_f32_e32 v13, v13, v14
	v_add_f32_e32 v14, v23, v15
	v_mul_f32_e32 v15, 0xbf0a6770, v8
	v_mov_b32_e32 v23, v15
	v_fmac_f32_e32 v23, 0x3f575c64, v16
	v_fmac_f32_e32 v47, 0xbf7d64f0, v18
	v_add_f32_e32 v23, v23, v39
	v_mul_f32_e32 v39, 0x3f575c64, v17
	v_fma_f32 v15, v16, s2, -v15
	v_add_f32_e32 v37, v47, v37
	v_mov_b32_e32 v47, v39
	v_add_f32_e32 v22, v15, v22
	v_fmac_f32_e32 v39, 0xbf0a6770, v18
	v_mul_f32_e32 v15, 0xbe903f40, v8
	v_add_f32_e32 v36, v39, v36
	v_mov_b32_e32 v39, v15
	v_fma_f32 v15, v16, s8, -v15
	v_mul_f32_e32 v8, 0x3f68dda4, v8
	v_add_f32_e32 v38, v15, v38
	v_mov_b32_e32 v15, v8
	v_fmac_f32_e32 v39, 0xbf75a155, v16
	v_fmac_f32_e32 v15, 0x3ed4b147, v16
	v_add_f32_e32 v49, v52, v49
	v_fmac_f32_e32 v47, 0x3f0a6770, v18
	v_add_f32_e32 v39, v39, v45
	v_mul_f32_e32 v45, 0xbf75a155, v17
	v_add_f32_e32 v44, v15, v44
	v_mul_f32_e32 v15, 0x3ed4b147, v17
	v_add_f32_e32 v0, v0, v63
	v_add_f32_e32 v48, v48, v51
	;; [unrolled: 1-line block ×4, first 2 shown]
	v_mov_b32_e32 v47, v45
	v_mov_b32_e32 v17, v15
	v_add_f32_e32 v50, v9, v10
	v_add_f32_e32 v0, v0, v64
	v_add_f32_e32 v46, v46, v48
	v_fmac_f32_e32 v47, 0x3e903f40, v18
	v_fmac_f32_e32 v45, 0xbe903f40, v18
	;; [unrolled: 1-line block ×3, first 2 shown]
	v_fma_f32 v8, v16, s3, -v8
	v_fmac_f32_e32 v15, 0x3f68dda4, v18
	v_sub_f32_e32 v51, v65, v66
	v_sub_f32_e32 v52, v9, v10
	v_mul_f32_e32 v9, 0xbf75a155, v50
	v_add_f32_e32 v0, v0, v65
	v_add_f32_e32 v47, v47, v49
	;; [unrolled: 1-line block ×7, first 2 shown]
	v_mul_f32_e32 v8, 0xbe903f40, v52
	v_mov_b32_e32 v3, v9
	v_fmac_f32_e32 v9, 0xbe903f40, v51
	v_add_f32_e32 v0, v0, v66
	v_mov_b32_e32 v2, v8
	v_fma_f32 v8, v49, s8, -v8
	v_add_f32_e32 v9, v9, v12
	v_mul_f32_e32 v12, 0x3f0a6770, v52
	v_mul_f32_e32 v15, 0x3f575c64, v50
	v_add_f32_e32 v0, v0, v67
	v_add_f32_e32 v8, v8, v11
	v_mov_b32_e32 v10, v12
	v_mov_b32_e32 v11, v15
	v_fma_f32 v12, v49, s2, -v12
	v_fmac_f32_e32 v15, 0x3f0a6770, v51
	v_mul_f32_e32 v16, 0xbf4178ce, v52
	v_mul_f32_e32 v17, 0xbf27a4f4, v50
	v_add_f32_e32 v0, v0, v68
	v_fmac_f32_e32 v3, 0x3e903f40, v51
	v_fmac_f32_e32 v10, 0x3f575c64, v49
	;; [unrolled: 1-line block ×3, first 2 shown]
	v_add_f32_e32 v12, v12, v13
	v_add_f32_e32 v13, v15, v14
	v_mov_b32_e32 v14, v16
	v_mov_b32_e32 v15, v17
	v_fmac_f32_e32 v17, 0xbf4178ce, v51
	v_add_f32_e32 v0, v0, v69
	v_fmac_f32_e32 v2, 0xbf75a155, v49
	v_add_f32_e32 v3, v3, v21
	v_add_f32_e32 v10, v10, v20
	;; [unrolled: 1-line block ×3, first 2 shown]
	v_fmac_f32_e32 v14, 0xbf27a4f4, v49
	v_fma_f32 v16, v49, s7, -v16
	v_add_f32_e32 v17, v17, v36
	v_mul_f32_e32 v20, 0x3f68dda4, v52
	v_mul_f32_e32 v21, 0x3ed4b147, v50
	;; [unrolled: 1-line block ×4, first 2 shown]
	v_add_f32_e32 v0, v0, v70
	v_add_f32_e32 v2, v2, v19
	v_add_f32_e32 v14, v14, v23
	v_fmac_f32_e32 v15, 0x3f4178ce, v51
	v_add_f32_e32 v16, v16, v22
	v_mov_b32_e32 v18, v20
	v_mov_b32_e32 v19, v21
	;; [unrolled: 1-line block ×4, first 2 shown]
	v_add_f32_e32 v15, v15, v43
	v_fmac_f32_e32 v18, 0x3ed4b147, v49
	v_fmac_f32_e32 v19, 0xbf68dda4, v51
	;; [unrolled: 1-line block ×4, first 2 shown]
	ds_write2_b64 v40, v[0:1], v[2:3] offset1:182
	v_add_u32_e32 v0, 0xa00, v40
	v_add_f32_e32 v18, v18, v39
	v_add_f32_e32 v19, v19, v47
	v_fma_f32 v20, v49, s3, -v20
	v_fmac_f32_e32 v21, 0x3f68dda4, v51
	v_add_f32_e32 v22, v22, v44
	v_add_f32_e32 v23, v23, v45
	v_fma_f32 v36, v49, s6, -v36
	v_fmac_f32_e32 v37, 0xbf7d64f0, v51
	ds_write2_b64 v0, v[10:11], v[14:15] offset0:44 offset1:226
	v_add_u32_e32 v0, 0x1600, v40
	v_add_f32_e32 v20, v20, v38
	v_add_f32_e32 v21, v21, v42
	;; [unrolled: 1-line block ×4, first 2 shown]
	ds_write2_b64 v0, v[18:19], v[22:23] offset0:24 offset1:206
	ds_write2_b64 v31, v[36:37], v[20:21] offset0:68 offset1:250
	;; [unrolled: 1-line block ×3, first 2 shown]
	ds_write_b64 v40, v[8:9] offset:14560
	s_waitcnt lgkmcnt(0)
	s_barrier
	ds_read_b64 v[2:3], v40
	s_add_u32 s8, s12, 0x3e80
	s_addc_u32 s9, s13, 0
	v_sub_u32_e32 v8, 0, v29
	v_cmp_ne_u32_e64 s[2:3], 0, v28
                                        ; implicit-def: $vgpr1
                                        ; implicit-def: $vgpr9
	s_and_saveexec_b64 s[6:7], s[2:3]
	s_xor_b64 s[6:7], exec, s[6:7]
	s_cbranch_execz .LBB0_25
; %bb.24:
	v_mov_b32_e32 v29, 0
	v_lshlrev_b64 v[0:1], 3, v[28:29]
	v_mov_b32_e32 v9, s9
	v_add_co_u32_e64 v0, s[2:3], s8, v0
	v_addc_co_u32_e64 v1, s[2:3], v9, v1, s[2:3]
	global_load_dwordx2 v[10:11], v[0:1], off
	ds_read_b64 v[0:1], v8 offset:16016
	s_waitcnt lgkmcnt(0)
	v_add_f32_e32 v12, v0, v2
	v_sub_f32_e32 v0, v2, v0
	v_add_f32_e32 v9, v1, v3
	v_sub_f32_e32 v1, v3, v1
	v_mul_f32_e32 v3, 0.5, v0
	v_mul_f32_e32 v0, 0.5, v1
	;; [unrolled: 1-line block ×3, first 2 shown]
	s_waitcnt vmcnt(0)
	v_mul_f32_e32 v1, v11, v3
	v_fma_f32 v13, 0.5, v12, v1
	v_fma_f32 v9, v2, v11, v0
	v_fma_f32 v11, v2, v11, -v0
	v_fma_f32 v0, v12, 0.5, -v1
	v_fmac_f32_e32 v13, v10, v2
	v_fma_f32 v9, -v10, v3, v9
	v_fma_f32 v0, -v10, v2, v0
	ds_write_b32 v40, v13
	v_fma_f32 v1, -v10, v3, v11
                                        ; implicit-def: $vgpr2_vgpr3
.LBB0_25:
	s_andn2_saveexec_b64 s[2:3], s[6:7]
	s_cbranch_execz .LBB0_27
; %bb.26:
	v_mov_b32_e32 v9, 0
	ds_read_b32 v1, v9 offset:8012
	s_waitcnt lgkmcnt(1)
	v_add_f32_e32 v10, v2, v3
	v_sub_f32_e32 v0, v2, v3
	ds_write_b32 v40, v10
	s_waitcnt lgkmcnt(1)
	v_xor_b32_e32 v1, 0x80000000, v1
	ds_write_b32 v9, v1 offset:8012
	v_mov_b32_e32 v1, v9
.LBB0_27:
	s_or_b64 exec, exec, s[2:3]
	v_mov_b32_e32 v31, 0
	s_waitcnt lgkmcnt(0)
	v_lshlrev_b64 v[2:3], 3, v[30:31]
	v_mov_b32_e32 v10, s9
	v_add_co_u32_e64 v2, s[2:3], s8, v2
	v_addc_co_u32_e64 v3, s[2:3], v10, v3, s[2:3]
	global_load_dwordx2 v[2:3], v[2:3], off
	v_mov_b32_e32 v36, v31
	v_lshlrev_b64 v[10:11], 3, v[35:36]
	v_mov_b32_e32 v12, s9
	v_add_co_u32_e64 v10, s[2:3], s8, v10
	v_addc_co_u32_e64 v11, s[2:3], v12, v11, s[2:3]
	global_load_dwordx2 v[10:11], v[10:11], off
	v_mov_b32_e32 v35, v31
	;; [unrolled: 6-line block ×3, first 2 shown]
	v_lshlrev_b64 v[16:17], 3, v[33:34]
	ds_write_b32 v40, v9 offset:4
	ds_write_b64 v8, v[0:1] offset:16016
	v_mov_b32_e32 v9, s9
	v_add_co_u32_e64 v16, s[2:3], s8, v16
	v_addc_co_u32_e64 v17, s[2:3], v9, v17, s[2:3]
	ds_read_b64 v[0:1], v41
	ds_read_b64 v[14:15], v8 offset:14560
	global_load_dwordx2 v[16:17], v[16:17], off
	s_waitcnt lgkmcnt(0)
	v_add_f32_e32 v9, v0, v14
	v_sub_f32_e32 v0, v0, v14
	v_add_f32_e32 v18, v1, v15
	v_sub_f32_e32 v1, v1, v15
	v_mul_f32_e32 v15, 0.5, v0
	v_mul_f32_e32 v14, 0.5, v18
	v_mul_f32_e32 v0, 0.5, v1
	s_waitcnt vmcnt(3)
	v_mul_f32_e32 v18, v3, v15
	v_fma_f32 v1, v14, v3, v0
	v_fma_f32 v3, v14, v3, -v0
	v_fma_f32 v0, 0.5, v9, v18
	v_fma_f32 v1, -v2, v15, v1
	v_fma_f32 v9, v9, 0.5, -v18
	v_fmac_f32_e32 v0, v2, v14
	v_fma_f32 v3, -v2, v15, v3
	v_fma_f32 v2, -v2, v14, v9
	ds_write_b64 v41, v[0:1]
	ds_write_b64 v8, v[2:3] offset:14560
	ds_read_b64 v[0:1], v7
	ds_read_b64 v[2:3], v8 offset:13104
	s_waitcnt lgkmcnt(0)
	v_add_f32_e32 v9, v0, v2
	v_sub_f32_e32 v0, v0, v2
	v_add_f32_e32 v14, v1, v3
	v_sub_f32_e32 v1, v1, v3
	v_mul_f32_e32 v3, 0.5, v0
	v_mul_f32_e32 v2, 0.5, v14
	v_mul_f32_e32 v0, 0.5, v1
	s_waitcnt vmcnt(2)
	v_mul_f32_e32 v14, v11, v3
	v_fma_f32 v1, v2, v11, v0
	v_fma_f32 v11, v2, v11, -v0
	v_fma_f32 v0, 0.5, v9, v14
	v_fma_f32 v1, -v10, v3, v1
	v_fma_f32 v9, v9, 0.5, -v14
	v_fmac_f32_e32 v0, v10, v2
	v_fma_f32 v3, -v10, v3, v11
	v_fma_f32 v2, -v10, v2, v9
	ds_write_b64 v7, v[0:1]
	ds_write_b64 v8, v[2:3] offset:13104
	ds_read_b64 v[0:1], v6
	ds_read_b64 v[2:3], v8 offset:11648
	;; [unrolled: 22-line block ×3, first 2 shown]
	s_waitcnt lgkmcnt(0)
	v_add_f32_e32 v6, v0, v2
	v_sub_f32_e32 v0, v0, v2
	v_add_f32_e32 v7, v1, v3
	v_sub_f32_e32 v1, v1, v3
	v_mul_f32_e32 v3, 0.5, v0
	v_mul_f32_e32 v2, 0.5, v7
	;; [unrolled: 1-line block ×3, first 2 shown]
	s_waitcnt vmcnt(0)
	v_mul_f32_e32 v7, v17, v3
	v_fma_f32 v1, v2, v17, v0
	v_fma_f32 v9, v2, v17, -v0
	v_fma_f32 v0, 0.5, v6, v7
	v_fma_f32 v1, -v16, v3, v1
	v_fma_f32 v6, v6, 0.5, -v7
	v_fmac_f32_e32 v0, v16, v2
	v_fma_f32 v3, -v16, v3, v9
	v_fma_f32 v2, -v16, v2, v6
	ds_write_b64 v5, v[0:1]
	ds_write_b64 v8, v[2:3] offset:10192
	s_and_saveexec_b64 s[2:3], vcc
	s_cbranch_execz .LBB0_29
; %bb.28:
	v_mov_b32_e32 v33, v31
	v_lshlrev_b64 v[0:1], 3, v[32:33]
	v_mov_b32_e32 v2, s9
	v_add_co_u32_e32 v0, vcc, s8, v0
	v_addc_co_u32_e32 v1, vcc, v2, v1, vcc
	global_load_dwordx2 v[0:1], v[0:1], off
	ds_read_b64 v[2:3], v4
	ds_read_b64 v[5:6], v8 offset:8736
	s_waitcnt lgkmcnt(0)
	v_add_f32_e32 v7, v2, v5
	v_sub_f32_e32 v2, v2, v5
	v_add_f32_e32 v9, v3, v6
	v_sub_f32_e32 v3, v3, v6
	v_mul_f32_e32 v6, 0.5, v2
	v_mul_f32_e32 v5, 0.5, v9
	v_mul_f32_e32 v2, 0.5, v3
	s_waitcnt vmcnt(0)
	v_mul_f32_e32 v3, v1, v6
	v_fma_f32 v9, v5, v1, v2
	v_fma_f32 v10, v5, v1, -v2
	v_fma_f32 v1, 0.5, v7, v3
	v_fma_f32 v2, -v0, v6, v9
	v_fma_f32 v3, v7, 0.5, -v3
	v_fmac_f32_e32 v1, v0, v5
	v_fma_f32 v6, -v0, v6, v10
	v_fma_f32 v5, -v0, v5, v3
	ds_write_b64 v4, v[1:2]
	ds_write_b64 v8, v[5:6] offset:8736
.LBB0_29:
	s_or_b64 exec, exec, s[2:3]
	s_waitcnt lgkmcnt(0)
	s_barrier
	s_and_saveexec_b64 s[2:3], s[0:1]
	s_cbranch_execz .LBB0_32
; %bb.30:
	v_mul_lo_u32 v2, s5, v26
	v_mul_lo_u32 v3, s4, v27
	v_mad_u64_u32 v[0:1], s[0:1], s4, v26, 0
	v_mov_b32_e32 v6, s11
	v_lshl_add_u32 v8, v28, 3, 0
	v_add3_u32 v1, v1, v3, v2
	v_lshlrev_b64 v[0:1], 3, v[0:1]
	v_mov_b32_e32 v29, 0
	v_add_co_u32_e32 v0, vcc, s10, v0
	v_addc_co_u32_e32 v9, vcc, v6, v1, vcc
	v_lshlrev_b64 v[6:7], 3, v[24:25]
	ds_read2_b64 v[2:5], v8 offset1:182
	v_add_co_u32_e32 v1, vcc, v0, v6
	v_addc_co_u32_e32 v0, vcc, v9, v7, vcc
	v_lshlrev_b64 v[6:7], 3, v[28:29]
	s_movk_i32 s0, 0xb5
	v_add_co_u32_e32 v6, vcc, v1, v6
	v_addc_co_u32_e32 v7, vcc, v0, v7, vcc
	s_waitcnt lgkmcnt(0)
	global_store_dwordx2 v[6:7], v[2:3], off
	v_add_u32_e32 v2, 0xb6, v28
	v_mov_b32_e32 v3, v29
	v_lshlrev_b64 v[2:3], 3, v[2:3]
	v_add_u32_e32 v6, 0x16c, v28
	v_add_co_u32_e32 v2, vcc, v1, v2
	v_addc_co_u32_e32 v3, vcc, v0, v3, vcc
	global_store_dwordx2 v[2:3], v[4:5], off
	v_add_u32_e32 v2, 0xa00, v8
	v_mov_b32_e32 v7, v29
	ds_read2_b64 v[2:5], v2 offset0:44 offset1:226
	v_lshlrev_b64 v[6:7], 3, v[6:7]
	v_add_co_u32_e32 v6, vcc, v1, v6
	v_addc_co_u32_e32 v7, vcc, v0, v7, vcc
	s_waitcnt lgkmcnt(0)
	global_store_dwordx2 v[6:7], v[2:3], off
	v_add_u32_e32 v2, 0x222, v28
	v_mov_b32_e32 v3, v29
	v_lshlrev_b64 v[2:3], 3, v[2:3]
	v_add_u32_e32 v6, 0x2d8, v28
	v_add_co_u32_e32 v2, vcc, v1, v2
	v_addc_co_u32_e32 v3, vcc, v0, v3, vcc
	global_store_dwordx2 v[2:3], v[4:5], off
	v_add_u32_e32 v2, 0x1600, v8
	v_mov_b32_e32 v7, v29
	ds_read2_b64 v[2:5], v2 offset0:24 offset1:206
	v_lshlrev_b64 v[6:7], 3, v[6:7]
	;; [unrolled: 15-line block ×4, first 2 shown]
	v_add_co_u32_e32 v6, vcc, v1, v6
	v_addc_co_u32_e32 v7, vcc, v0, v7, vcc
	s_waitcnt lgkmcnt(0)
	global_store_dwordx2 v[6:7], v[2:3], off
	v_add_u32_e32 v2, 0x666, v28
	v_mov_b32_e32 v3, v29
	v_lshlrev_b64 v[2:3], 3, v[2:3]
	v_add_co_u32_e32 v2, vcc, v1, v2
	v_addc_co_u32_e32 v3, vcc, v0, v3, vcc
	global_store_dwordx2 v[2:3], v[4:5], off
	v_add_u32_e32 v2, 0x71c, v28
	v_mov_b32_e32 v3, v29
	ds_read_b64 v[4:5], v8 offset:14560
	v_lshlrev_b64 v[2:3], 3, v[2:3]
	v_add_co_u32_e32 v2, vcc, v1, v2
	v_addc_co_u32_e32 v3, vcc, v0, v3, vcc
	v_cmp_eq_u32_e32 vcc, s0, v28
	s_waitcnt lgkmcnt(0)
	global_store_dwordx2 v[2:3], v[4:5], off
	s_and_b64 exec, exec, vcc
	s_cbranch_execz .LBB0_32
; %bb.31:
	ds_read_b64 v[2:3], v29 offset:16016
	v_add_co_u32_e32 v4, vcc, 0x3000, v1
	v_addc_co_u32_e32 v5, vcc, 0, v0, vcc
	s_waitcnt lgkmcnt(0)
	global_store_dwordx2 v[4:5], v[2:3], off offset:3728
.LBB0_32:
	s_endpgm
	.section	.rodata,"a",@progbits
	.p2align	6, 0x0
	.amdhsa_kernel fft_rtc_back_len2002_factors_2_13_7_11_wgs_182_tpt_182_halfLds_sp_op_CI_CI_unitstride_sbrr_R2C_dirReg
		.amdhsa_group_segment_fixed_size 0
		.amdhsa_private_segment_fixed_size 0
		.amdhsa_kernarg_size 104
		.amdhsa_user_sgpr_count 6
		.amdhsa_user_sgpr_private_segment_buffer 1
		.amdhsa_user_sgpr_dispatch_ptr 0
		.amdhsa_user_sgpr_queue_ptr 0
		.amdhsa_user_sgpr_kernarg_segment_ptr 1
		.amdhsa_user_sgpr_dispatch_id 0
		.amdhsa_user_sgpr_flat_scratch_init 0
		.amdhsa_user_sgpr_private_segment_size 0
		.amdhsa_uses_dynamic_stack 0
		.amdhsa_system_sgpr_private_segment_wavefront_offset 0
		.amdhsa_system_sgpr_workgroup_id_x 1
		.amdhsa_system_sgpr_workgroup_id_y 0
		.amdhsa_system_sgpr_workgroup_id_z 0
		.amdhsa_system_sgpr_workgroup_info 0
		.amdhsa_system_vgpr_workitem_id 0
		.amdhsa_next_free_vgpr 195
		.amdhsa_next_free_sgpr 28
		.amdhsa_reserve_vcc 1
		.amdhsa_reserve_flat_scratch 0
		.amdhsa_float_round_mode_32 0
		.amdhsa_float_round_mode_16_64 0
		.amdhsa_float_denorm_mode_32 3
		.amdhsa_float_denorm_mode_16_64 3
		.amdhsa_dx10_clamp 1
		.amdhsa_ieee_mode 1
		.amdhsa_fp16_overflow 0
		.amdhsa_exception_fp_ieee_invalid_op 0
		.amdhsa_exception_fp_denorm_src 0
		.amdhsa_exception_fp_ieee_div_zero 0
		.amdhsa_exception_fp_ieee_overflow 0
		.amdhsa_exception_fp_ieee_underflow 0
		.amdhsa_exception_fp_ieee_inexact 0
		.amdhsa_exception_int_div_zero 0
	.end_amdhsa_kernel
	.text
.Lfunc_end0:
	.size	fft_rtc_back_len2002_factors_2_13_7_11_wgs_182_tpt_182_halfLds_sp_op_CI_CI_unitstride_sbrr_R2C_dirReg, .Lfunc_end0-fft_rtc_back_len2002_factors_2_13_7_11_wgs_182_tpt_182_halfLds_sp_op_CI_CI_unitstride_sbrr_R2C_dirReg
                                        ; -- End function
	.section	.AMDGPU.csdata,"",@progbits
; Kernel info:
; codeLenInByte = 11336
; NumSgprs: 32
; NumVgprs: 195
; ScratchSize: 0
; MemoryBound: 0
; FloatMode: 240
; IeeeMode: 1
; LDSByteSize: 0 bytes/workgroup (compile time only)
; SGPRBlocks: 3
; VGPRBlocks: 48
; NumSGPRsForWavesPerEU: 32
; NumVGPRsForWavesPerEU: 195
; Occupancy: 1
; WaveLimiterHint : 1
; COMPUTE_PGM_RSRC2:SCRATCH_EN: 0
; COMPUTE_PGM_RSRC2:USER_SGPR: 6
; COMPUTE_PGM_RSRC2:TRAP_HANDLER: 0
; COMPUTE_PGM_RSRC2:TGID_X_EN: 1
; COMPUTE_PGM_RSRC2:TGID_Y_EN: 0
; COMPUTE_PGM_RSRC2:TGID_Z_EN: 0
; COMPUTE_PGM_RSRC2:TIDIG_COMP_CNT: 0
	.type	__hip_cuid_c54d00a4cb5836d6,@object ; @__hip_cuid_c54d00a4cb5836d6
	.section	.bss,"aw",@nobits
	.globl	__hip_cuid_c54d00a4cb5836d6
__hip_cuid_c54d00a4cb5836d6:
	.byte	0                               ; 0x0
	.size	__hip_cuid_c54d00a4cb5836d6, 1

	.ident	"AMD clang version 19.0.0git (https://github.com/RadeonOpenCompute/llvm-project roc-6.4.0 25133 c7fe45cf4b819c5991fe208aaa96edf142730f1d)"
	.section	".note.GNU-stack","",@progbits
	.addrsig
	.addrsig_sym __hip_cuid_c54d00a4cb5836d6
	.amdgpu_metadata
---
amdhsa.kernels:
  - .args:
      - .actual_access:  read_only
        .address_space:  global
        .offset:         0
        .size:           8
        .value_kind:     global_buffer
      - .offset:         8
        .size:           8
        .value_kind:     by_value
      - .actual_access:  read_only
        .address_space:  global
        .offset:         16
        .size:           8
        .value_kind:     global_buffer
      - .actual_access:  read_only
        .address_space:  global
        .offset:         24
        .size:           8
        .value_kind:     global_buffer
      - .actual_access:  read_only
        .address_space:  global
        .offset:         32
        .size:           8
        .value_kind:     global_buffer
      - .offset:         40
        .size:           8
        .value_kind:     by_value
      - .actual_access:  read_only
        .address_space:  global
        .offset:         48
        .size:           8
        .value_kind:     global_buffer
      - .actual_access:  read_only
        .address_space:  global
        .offset:         56
        .size:           8
        .value_kind:     global_buffer
      - .offset:         64
        .size:           4
        .value_kind:     by_value
      - .actual_access:  read_only
        .address_space:  global
        .offset:         72
        .size:           8
        .value_kind:     global_buffer
      - .actual_access:  read_only
        .address_space:  global
        .offset:         80
        .size:           8
        .value_kind:     global_buffer
      - .actual_access:  read_only
        .address_space:  global
        .offset:         88
        .size:           8
        .value_kind:     global_buffer
      - .actual_access:  write_only
        .address_space:  global
        .offset:         96
        .size:           8
        .value_kind:     global_buffer
    .group_segment_fixed_size: 0
    .kernarg_segment_align: 8
    .kernarg_segment_size: 104
    .language:       OpenCL C
    .language_version:
      - 2
      - 0
    .max_flat_workgroup_size: 182
    .name:           fft_rtc_back_len2002_factors_2_13_7_11_wgs_182_tpt_182_halfLds_sp_op_CI_CI_unitstride_sbrr_R2C_dirReg
    .private_segment_fixed_size: 0
    .sgpr_count:     32
    .sgpr_spill_count: 0
    .symbol:         fft_rtc_back_len2002_factors_2_13_7_11_wgs_182_tpt_182_halfLds_sp_op_CI_CI_unitstride_sbrr_R2C_dirReg.kd
    .uniform_work_group_size: 1
    .uses_dynamic_stack: false
    .vgpr_count:     195
    .vgpr_spill_count: 0
    .wavefront_size: 64
amdhsa.target:   amdgcn-amd-amdhsa--gfx906
amdhsa.version:
  - 1
  - 2
...

	.end_amdgpu_metadata
